;; amdgpu-corpus repo=ROCm/rocFFT kind=compiled arch=gfx906 opt=O3
	.text
	.amdgcn_target "amdgcn-amd-amdhsa--gfx906"
	.amdhsa_code_object_version 6
	.protected	fft_rtc_fwd_len280_factors_8_5_7_wgs_392_tpt_56_sp_ip_CI_sbcc ; -- Begin function fft_rtc_fwd_len280_factors_8_5_7_wgs_392_tpt_56_sp_ip_CI_sbcc
	.globl	fft_rtc_fwd_len280_factors_8_5_7_wgs_392_tpt_56_sp_ip_CI_sbcc
	.p2align	8
	.type	fft_rtc_fwd_len280_factors_8_5_7_wgs_392_tpt_56_sp_ip_CI_sbcc,@function
fft_rtc_fwd_len280_factors_8_5_7_wgs_392_tpt_56_sp_ip_CI_sbcc: ; @fft_rtc_fwd_len280_factors_8_5_7_wgs_392_tpt_56_sp_ip_CI_sbcc
; %bb.0:
	s_load_dwordx4 s[0:3], s[4:5], 0x18
	s_mov_b32 s7, 0
	s_mov_b64 s[22:23], 0
	s_waitcnt lgkmcnt(0)
	s_load_dwordx2 s[16:17], s[0:1], 0x8
	s_waitcnt lgkmcnt(0)
	s_add_u32 s8, s16, -1
	s_addc_u32 s9, s17, -1
	s_add_u32 s10, 0, 0x92481000
	s_addc_u32 s11, 0, 0x64
	s_mul_hi_u32 s13, s10, -7
	s_add_i32 s11, s11, 0x249248c0
	s_sub_i32 s13, s13, s10
	s_mul_i32 s18, s11, -7
	s_mul_i32 s12, s10, -7
	s_add_i32 s13, s13, s18
	s_mul_hi_u32 s14, s11, s12
	s_mul_i32 s15, s11, s12
	s_mul_i32 s19, s10, s13
	s_mul_hi_u32 s12, s10, s12
	s_mul_hi_u32 s18, s10, s13
	s_add_u32 s12, s12, s19
	s_addc_u32 s18, 0, s18
	s_add_u32 s12, s12, s15
	s_mul_hi_u32 s19, s11, s13
	s_addc_u32 s12, s18, s14
	s_addc_u32 s14, s19, 0
	s_mul_i32 s13, s11, s13
	s_add_u32 s12, s12, s13
	v_mov_b32_e32 v1, s12
	s_addc_u32 s13, 0, s14
	v_add_co_u32_e32 v1, vcc, s10, v1
	s_cmp_lg_u64 vcc, 0
	s_addc_u32 s10, s11, s13
	v_readfirstlane_b32 s13, v1
	s_mul_i32 s12, s8, s10
	s_mul_hi_u32 s14, s8, s13
	s_mul_hi_u32 s11, s8, s10
	s_add_u32 s12, s14, s12
	s_addc_u32 s11, 0, s11
	s_mul_hi_u32 s15, s9, s13
	s_mul_i32 s13, s9, s13
	s_add_u32 s12, s12, s13
	s_mul_hi_u32 s14, s9, s10
	s_addc_u32 s11, s11, s15
	s_addc_u32 s12, s14, 0
	s_mul_i32 s10, s9, s10
	s_add_u32 s10, s11, s10
	s_addc_u32 s11, 0, s12
	s_add_u32 s12, s10, 1
	s_addc_u32 s13, s11, 0
	s_add_u32 s14, s10, 2
	s_mul_i32 s18, s11, 7
	s_mul_hi_u32 s19, s10, 7
	s_addc_u32 s15, s11, 0
	s_add_i32 s19, s19, s18
	s_mul_i32 s18, s10, 7
	v_mov_b32_e32 v1, s18
	v_sub_co_u32_e32 v1, vcc, s8, v1
	s_cmp_lg_u64 vcc, 0
	s_subb_u32 s8, s9, s19
	v_subrev_co_u32_e32 v2, vcc, 7, v1
	s_cmp_lg_u64 vcc, 0
	s_subb_u32 s9, s8, 0
	v_readfirstlane_b32 s18, v2
	s_cmp_gt_u32 s18, 6
	s_cselect_b32 s18, -1, 0
	s_cmp_eq_u32 s9, 0
	s_cselect_b32 s9, s18, -1
	s_cmp_lg_u32 s9, 0
	s_cselect_b32 s9, s14, s12
	s_cselect_b32 s12, s15, s13
	v_readfirstlane_b32 s13, v1
	s_cmp_gt_u32 s13, 6
	s_cselect_b32 s13, -1, 0
	s_cmp_eq_u32 s8, 0
	s_cselect_b32 s8, s13, -1
	s_cmp_lg_u32 s8, 0
	s_cselect_b32 s9, s9, s10
	s_cselect_b32 s8, s12, s11
	s_add_u32 s18, s9, 1
	s_addc_u32 s19, s8, 0
	v_mov_b32_e32 v1, s18
	v_mov_b32_e32 v2, s19
	v_cmp_lt_u64_e32 vcc, s[6:7], v[1:2]
	s_cbranch_vccnz .LBB0_2
; %bb.1:
	v_cvt_f32_u32_e32 v1, s18
	s_sub_i32 s8, 0, s18
	s_mov_b32 s23, s7
	v_rcp_iflag_f32_e32 v1, v1
	v_mul_f32_e32 v1, 0x4f7ffffe, v1
	v_cvt_u32_f32_e32 v1, v1
	v_readfirstlane_b32 s9, v1
	s_mul_i32 s8, s8, s9
	s_mul_hi_u32 s8, s9, s8
	s_add_i32 s9, s9, s8
	s_mul_hi_u32 s8, s6, s9
	s_mul_i32 s10, s8, s18
	s_sub_i32 s10, s6, s10
	s_add_i32 s9, s8, 1
	s_sub_i32 s11, s10, s18
	s_cmp_ge_u32 s10, s18
	s_cselect_b32 s8, s9, s8
	s_cselect_b32 s10, s11, s10
	s_add_i32 s9, s8, 1
	s_cmp_ge_u32 s10, s18
	s_cselect_b32 s22, s9, s8
.LBB0_2:
	s_load_dwordx2 s[14:15], s[4:5], 0x0
	s_load_dwordx4 s[8:11], s[2:3], 0x0
	s_load_dwordx2 s[12:13], s[4:5], 0x58
	s_load_dwordx2 s[20:21], s[4:5], 0x10
	s_mul_i32 s4, s22, s19
	s_mul_hi_u32 s5, s22, s18
	s_add_i32 s5, s5, s4
	s_mul_i32 s4, s22, s18
	s_sub_u32 s36, s6, s4
	s_subb_u32 s4, 0, s5
	s_mul_i32 s4, s4, 7
	s_mul_hi_u32 s33, s36, 7
	s_add_i32 s33, s33, s4
	s_mul_i32 s36, s36, 7
	s_waitcnt lgkmcnt(0)
	s_mul_i32 s4, s10, s33
	s_mul_hi_u32 s5, s10, s36
	s_add_i32 s4, s5, s4
	s_mul_i32 s5, s11, s36
	s_add_i32 s37, s4, s5
	v_cmp_lt_u64_e64 s[4:5], s[20:21], 3
	s_mul_i32 s38, s10, s36
	s_and_b64 vcc, exec, s[4:5]
	s_cbranch_vccnz .LBB0_12
; %bb.3:
	s_add_u32 s4, s2, 16
	s_addc_u32 s5, s3, 0
	s_add_u32 s24, s0, 16
	v_mov_b32_e32 v1, s20
	s_addc_u32 s25, s1, 0
	s_mov_b64 s[26:27], 2
	s_mov_b32 s28, 0
	v_mov_b32_e32 v2, s21
.LBB0_4:                                ; =>This Inner Loop Header: Depth=1
	s_load_dwordx2 s[30:31], s[24:25], 0x0
	s_waitcnt lgkmcnt(0)
	s_or_b64 s[0:1], s[22:23], s[30:31]
	s_mov_b32 s29, s1
	s_cmp_lg_u64 s[28:29], 0
	s_cbranch_scc0 .LBB0_9
; %bb.5:                                ;   in Loop: Header=BB0_4 Depth=1
	v_cvt_f32_u32_e32 v3, s30
	v_cvt_f32_u32_e32 v4, s31
	s_sub_u32 s0, 0, s30
	s_subb_u32 s1, 0, s31
	v_mac_f32_e32 v3, 0x4f800000, v4
	v_rcp_f32_e32 v3, v3
	v_mul_f32_e32 v3, 0x5f7ffffc, v3
	v_mul_f32_e32 v4, 0x2f800000, v3
	v_trunc_f32_e32 v4, v4
	v_mac_f32_e32 v3, 0xcf800000, v4
	v_cvt_u32_f32_e32 v4, v4
	v_cvt_u32_f32_e32 v3, v3
	v_readfirstlane_b32 s29, v4
	v_readfirstlane_b32 s34, v3
	s_mul_i32 s35, s0, s29
	s_mul_hi_u32 s40, s0, s34
	s_mul_i32 s39, s1, s34
	s_add_i32 s35, s40, s35
	s_mul_i32 s41, s0, s34
	s_add_i32 s35, s35, s39
	s_mul_hi_u32 s39, s34, s35
	s_mul_i32 s40, s34, s35
	s_mul_hi_u32 s34, s34, s41
	s_add_u32 s34, s34, s40
	s_addc_u32 s39, 0, s39
	s_mul_hi_u32 s42, s29, s41
	s_mul_i32 s41, s29, s41
	s_add_u32 s34, s34, s41
	s_mul_hi_u32 s40, s29, s35
	s_addc_u32 s34, s39, s42
	s_addc_u32 s39, s40, 0
	s_mul_i32 s35, s29, s35
	s_add_u32 s34, s34, s35
	s_addc_u32 s35, 0, s39
	v_add_co_u32_e32 v3, vcc, s34, v3
	s_cmp_lg_u64 vcc, 0
	s_addc_u32 s29, s29, s35
	v_readfirstlane_b32 s35, v3
	s_mul_i32 s34, s0, s29
	s_mul_hi_u32 s39, s0, s35
	s_add_i32 s34, s39, s34
	s_mul_i32 s1, s1, s35
	s_add_i32 s34, s34, s1
	s_mul_i32 s0, s0, s35
	s_mul_hi_u32 s39, s29, s0
	s_mul_i32 s40, s29, s0
	s_mul_i32 s42, s35, s34
	s_mul_hi_u32 s0, s35, s0
	s_mul_hi_u32 s41, s35, s34
	s_add_u32 s0, s0, s42
	s_addc_u32 s35, 0, s41
	s_add_u32 s0, s0, s40
	s_mul_hi_u32 s1, s29, s34
	s_addc_u32 s0, s35, s39
	s_addc_u32 s1, s1, 0
	s_mul_i32 s34, s29, s34
	s_add_u32 s0, s0, s34
	s_addc_u32 s1, 0, s1
	v_add_co_u32_e32 v3, vcc, s0, v3
	s_cmp_lg_u64 vcc, 0
	s_addc_u32 s0, s29, s1
	v_readfirstlane_b32 s34, v3
	s_mul_i32 s29, s22, s0
	s_mul_hi_u32 s35, s22, s34
	s_mul_hi_u32 s1, s22, s0
	s_add_u32 s29, s35, s29
	s_addc_u32 s1, 0, s1
	s_mul_hi_u32 s39, s23, s34
	s_mul_i32 s34, s23, s34
	s_add_u32 s29, s29, s34
	s_mul_hi_u32 s35, s23, s0
	s_addc_u32 s1, s1, s39
	s_addc_u32 s29, s35, 0
	s_mul_i32 s0, s23, s0
	s_add_u32 s34, s1, s0
	s_addc_u32 s29, 0, s29
	s_mul_i32 s0, s30, s29
	s_mul_hi_u32 s1, s30, s34
	s_add_i32 s0, s1, s0
	s_mul_i32 s1, s31, s34
	s_add_i32 s35, s0, s1
	s_mul_i32 s1, s30, s34
	v_mov_b32_e32 v3, s1
	s_sub_i32 s0, s23, s35
	v_sub_co_u32_e32 v3, vcc, s22, v3
	s_cmp_lg_u64 vcc, 0
	s_subb_u32 s39, s0, s31
	v_subrev_co_u32_e64 v4, s[0:1], s30, v3
	s_cmp_lg_u64 s[0:1], 0
	s_subb_u32 s0, s39, 0
	s_cmp_ge_u32 s0, s31
	v_readfirstlane_b32 s39, v4
	s_cselect_b32 s1, -1, 0
	s_cmp_ge_u32 s39, s30
	s_cselect_b32 s39, -1, 0
	s_cmp_eq_u32 s0, s31
	s_cselect_b32 s0, s39, s1
	s_add_u32 s1, s34, 1
	s_addc_u32 s39, s29, 0
	s_add_u32 s40, s34, 2
	s_addc_u32 s41, s29, 0
	s_cmp_lg_u32 s0, 0
	s_cselect_b32 s0, s40, s1
	s_cselect_b32 s1, s41, s39
	s_cmp_lg_u64 vcc, 0
	s_subb_u32 s35, s23, s35
	s_cmp_ge_u32 s35, s31
	v_readfirstlane_b32 s40, v3
	s_cselect_b32 s39, -1, 0
	s_cmp_ge_u32 s40, s30
	s_cselect_b32 s40, -1, 0
	s_cmp_eq_u32 s35, s31
	s_cselect_b32 s35, s40, s39
	s_cmp_lg_u32 s35, 0
	s_cselect_b32 s1, s1, s29
	s_cselect_b32 s0, s0, s34
	s_cbranch_execnz .LBB0_7
.LBB0_6:                                ;   in Loop: Header=BB0_4 Depth=1
	v_cvt_f32_u32_e32 v3, s30
	s_sub_i32 s0, 0, s30
	v_rcp_iflag_f32_e32 v3, v3
	v_mul_f32_e32 v3, 0x4f7ffffe, v3
	v_cvt_u32_f32_e32 v3, v3
	v_readfirstlane_b32 s1, v3
	s_mul_i32 s0, s0, s1
	s_mul_hi_u32 s0, s1, s0
	s_add_i32 s1, s1, s0
	s_mul_hi_u32 s0, s22, s1
	s_mul_i32 s29, s0, s30
	s_sub_i32 s29, s22, s29
	s_add_i32 s1, s0, 1
	s_sub_i32 s34, s29, s30
	s_cmp_ge_u32 s29, s30
	s_cselect_b32 s0, s1, s0
	s_cselect_b32 s29, s34, s29
	s_add_i32 s1, s0, 1
	s_cmp_ge_u32 s29, s30
	s_cselect_b32 s0, s1, s0
	s_mov_b32 s1, s28
.LBB0_7:                                ;   in Loop: Header=BB0_4 Depth=1
	s_mul_i32 s19, s30, s19
	s_mul_hi_u32 s29, s30, s18
	s_add_i32 s19, s29, s19
	s_mul_i32 s29, s31, s18
	s_add_i32 s19, s19, s29
	s_mul_i32 s29, s0, s31
	s_mul_hi_u32 s31, s0, s30
	s_load_dwordx2 s[34:35], s[4:5], 0x0
	s_add_i32 s29, s31, s29
	s_mul_i32 s31, s1, s30
	s_mul_i32 s18, s30, s18
	s_add_i32 s29, s29, s31
	s_mul_i32 s30, s0, s30
	s_sub_u32 s22, s22, s30
	s_subb_u32 s23, s23, s29
	s_waitcnt lgkmcnt(0)
	s_mul_i32 s23, s34, s23
	s_mul_hi_u32 s29, s34, s22
	s_add_i32 s23, s29, s23
	s_mul_i32 s29, s35, s22
	s_add_i32 s23, s23, s29
	s_mul_i32 s22, s34, s22
	s_add_u32 s38, s22, s38
	s_addc_u32 s37, s23, s37
	s_add_u32 s26, s26, 1
	s_addc_u32 s27, s27, 0
	;; [unrolled: 2-line block ×3, first 2 shown]
	v_cmp_ge_u64_e32 vcc, s[26:27], v[1:2]
	s_add_u32 s24, s24, 8
	s_addc_u32 s25, s25, 0
	s_cbranch_vccnz .LBB0_10
; %bb.8:                                ;   in Loop: Header=BB0_4 Depth=1
	s_mov_b64 s[22:23], s[0:1]
	s_branch .LBB0_4
.LBB0_9:                                ;   in Loop: Header=BB0_4 Depth=1
                                        ; implicit-def: $sgpr0_sgpr1
	s_branch .LBB0_6
.LBB0_10:
	v_mov_b32_e32 v1, s18
	v_mov_b32_e32 v2, s19
	v_cmp_lt_u64_e32 vcc, s[6:7], v[1:2]
	s_mov_b64 s[22:23], 0
	s_cbranch_vccnz .LBB0_12
; %bb.11:
	v_cvt_f32_u32_e32 v1, s18
	s_sub_i32 s0, 0, s18
	v_rcp_iflag_f32_e32 v1, v1
	v_mul_f32_e32 v1, 0x4f7ffffe, v1
	v_cvt_u32_f32_e32 v1, v1
	v_readfirstlane_b32 s1, v1
	s_mul_i32 s0, s0, s1
	s_mul_hi_u32 s0, s1, s0
	s_add_i32 s1, s1, s0
	s_mul_hi_u32 s0, s6, s1
	s_mul_i32 s4, s0, s18
	s_sub_i32 s4, s6, s4
	s_add_i32 s1, s0, 1
	s_sub_i32 s5, s4, s18
	s_cmp_ge_u32 s4, s18
	s_cselect_b32 s0, s1, s0
	s_cselect_b32 s4, s5, s4
	s_add_i32 s1, s0, 1
	s_cmp_ge_u32 s4, s18
	s_cselect_b32 s22, s1, s0
.LBB0_12:
	s_lshl_b64 s[0:1], s[20:21], 3
	s_add_u32 s0, s2, s0
	s_addc_u32 s1, s3, s1
	s_load_dwordx2 s[0:1], s[0:1], 0x0
	v_mov_b32_e32 v1, s16
	v_mul_u32_u24_e32 v3, 0x2493, v0
	v_mov_b32_e32 v2, s17
	v_lshrrev_b32_e32 v14, 16, v3
	s_waitcnt lgkmcnt(0)
	s_mul_i32 s1, s1, s22
	s_mul_hi_u32 s2, s0, s22
	s_mul_i32 s0, s0, s22
	s_add_i32 s1, s2, s1
	s_add_u32 s2, s0, s38
	s_addc_u32 s3, s1, s37
	s_add_u32 s0, s36, 7
	s_addc_u32 s1, s33, 0
	v_cmp_le_u64_e32 vcc, s[0:1], v[1:2]
	v_mul_lo_u16_e32 v1, 7, v14
	v_sub_u16_e32 v16, v0, v1
	v_mov_b32_e32 v2, s33
	v_add_co_u32_e64 v1, s[0:1], s36, v16
	v_addc_co_u32_e64 v2, s[0:1], 0, v2, s[0:1]
	v_cmp_gt_u64_e64 s[0:1], s[16:17], v[1:2]
	v_lshlrev_b32_e32 v17, 3, v14
	s_or_b64 s[0:1], vcc, s[0:1]
	v_add_u32_e32 v15, 56, v14
	s_and_saveexec_b64 s[4:5], s[0:1]
	s_cbranch_execz .LBB0_14
; %bb.13:
	v_mad_u64_u32 v[1:2], s[6:7], s10, v16, 0
	v_mad_u64_u32 v[3:4], s[6:7], s8, v14, 0
	v_add_u32_e32 v9, 0x70, v14
	v_add_u32_e32 v11, 0xa8, v14
	v_mad_u64_u32 v[5:6], s[6:7], s11, v16, v[2:3]
	v_mov_b32_e32 v2, v4
	v_mad_u64_u32 v[6:7], s[6:7], s9, v14, v[2:3]
	s_lshl_b64 s[6:7], s[2:3], 3
	s_add_u32 s16, s12, s6
	s_addc_u32 s6, s13, s7
	v_mov_b32_e32 v2, v5
	v_mov_b32_e32 v4, v6
	;; [unrolled: 1-line block ×3, first 2 shown]
	v_mad_u64_u32 v[5:6], s[6:7], s8, v15, 0
	v_lshlrev_b64 v[1:2], 3, v[1:2]
	v_add_co_u32_e32 v13, vcc, s16, v1
	v_addc_co_u32_e32 v24, vcc, v7, v2, vcc
	v_lshlrev_b64 v[1:2], 3, v[3:4]
	v_mov_b32_e32 v3, v6
	v_mad_u64_u32 v[3:4], s[6:7], s9, v15, v[3:4]
	v_mad_u64_u32 v[7:8], s[6:7], s8, v9, 0
	v_mov_b32_e32 v6, v3
	v_lshlrev_b64 v[3:4], 3, v[5:6]
	v_mov_b32_e32 v5, v8
	v_mad_u64_u32 v[5:6], s[6:7], s9, v9, v[5:6]
	v_mad_u64_u32 v[9:10], s[6:7], s8, v11, 0
	v_mov_b32_e32 v8, v5
	v_lshlrev_b64 v[5:6], 3, v[7:8]
	v_mov_b32_e32 v7, v10
	v_mad_u64_u32 v[7:8], s[6:7], s9, v11, v[7:8]
	v_add_u32_e32 v11, 0xe0, v14
	v_add_co_u32_e32 v1, vcc, v13, v1
	v_mov_b32_e32 v10, v7
	v_lshlrev_b64 v[7:8], 3, v[9:10]
	v_mad_u64_u32 v[9:10], s[6:7], s8, v11, 0
	v_addc_co_u32_e32 v2, vcc, v24, v2, vcc
	v_add_co_u32_e32 v3, vcc, v13, v3
	v_addc_co_u32_e32 v4, vcc, v24, v4, vcc
	v_mad_u64_u32 v[10:11], s[6:7], s9, v11, v[10:11]
	v_add_co_u32_e32 v5, vcc, v13, v5
	v_addc_co_u32_e32 v6, vcc, v24, v6, vcc
	v_add_co_u32_e32 v7, vcc, v13, v7
	v_addc_co_u32_e32 v8, vcc, v24, v8, vcc
	global_load_dwordx2 v[11:12], v[1:2], off
	global_load_dwordx2 v[18:19], v[3:4], off
	;; [unrolled: 1-line block ×4, first 2 shown]
	v_lshlrev_b64 v[1:2], 3, v[9:10]
	v_mul_u32_u24_e32 v3, 0x8c0, v16
	v_add_co_u32_e32 v1, vcc, v13, v1
	v_addc_co_u32_e32 v2, vcc, v24, v2, vcc
	global_load_dwordx2 v[1:2], v[1:2], off
	v_add3_u32 v3, 0, v3, v17
	s_waitcnt vmcnt(3)
	ds_write2_b64 v3, v[11:12], v[18:19] offset1:56
	s_waitcnt vmcnt(1)
	ds_write2_b64 v3, v[20:21], v[22:23] offset0:112 offset1:168
	s_waitcnt vmcnt(0)
	ds_write_b64 v3, v[1:2] offset:1792
.LBB0_14:
	s_or_b64 exec, exec, s[4:5]
	s_movk_i32 s4, 0x493
	v_mul_u32_u24_sdwa v1, v0, s4 dst_sel:DWORD dst_unused:UNUSED_PAD src0_sel:WORD_0 src1_sel:DWORD
	s_add_u32 s4, 0, 0x92481000
	s_addc_u32 s5, 0, 0x64
	s_add_i32 s5, s5, 0x249248c0
	s_mul_hi_u32 s17, s4, -7
	s_sub_i32 s17, s17, s4
	s_mul_i32 s18, s5, -7
	s_mul_i32 s6, s4, -7
	s_add_i32 s17, s17, s18
	s_mul_hi_u32 s7, s5, s6
	s_mul_i32 s16, s5, s6
	s_mul_i32 s19, s4, s17
	s_mul_hi_u32 s6, s4, s6
	s_mul_hi_u32 s18, s4, s17
	s_add_u32 s6, s6, s19
	s_addc_u32 s18, 0, s18
	s_add_u32 s6, s6, s16
	s_mul_hi_u32 s19, s5, s17
	s_addc_u32 s6, s18, s7
	v_lshrrev_b32_e32 v5, 16, v1
	s_addc_u32 s7, s19, 0
	s_mul_i32 s16, s5, s17
	v_mov_b32_e32 v1, s33
	v_add_co_u32_e32 v6, vcc, s36, v5
	s_add_u32 s6, s6, s16
	v_addc_co_u32_e32 v7, vcc, 0, v1, vcc
	v_mov_b32_e32 v1, s6
	s_addc_u32 s7, 0, s7
	v_add_co_u32_e32 v3, vcc, s4, v1
	s_cmp_lg_u64 vcc, 0
	s_addc_u32 s6, s5, s7
	v_mad_u64_u32 v[1:2], s[4:5], v6, s6, 0
	v_mul_hi_u32 v4, v6, v3
	s_waitcnt lgkmcnt(0)
	s_barrier
	v_add_co_u32_e32 v8, vcc, v4, v1
	v_addc_co_u32_e32 v9, vcc, 0, v2, vcc
	v_mad_u64_u32 v[1:2], s[4:5], v7, v3, 0
	v_mad_u64_u32 v[3:4], s[4:5], v7, s6, 0
	v_add_co_u32_e32 v1, vcc, v8, v1
	v_addc_co_u32_e32 v1, vcc, v9, v2, vcc
	v_addc_co_u32_e32 v2, vcc, 0, v4, vcc
	v_add_co_u32_e32 v1, vcc, v1, v3
	v_addc_co_u32_e32 v3, vcc, 0, v2, vcc
	v_mad_u64_u32 v[1:2], s[4:5], v1, 7, 0
	v_mad_u64_u32 v[2:3], s[4:5], v3, 7, v[2:3]
	v_sub_co_u32_e32 v1, vcc, v6, v1
	v_subb_co_u32_e32 v2, vcc, v7, v2, vcc
	v_subrev_co_u32_e32 v3, vcc, 7, v1
	v_subbrev_co_u32_e32 v4, vcc, 0, v2, vcc
	v_cmp_lt_u32_e32 vcc, 6, v3
	v_cndmask_b32_e64 v6, 0, -1, vcc
	v_cmp_eq_u32_e32 vcc, 0, v4
	v_cndmask_b32_e32 v4, -1, v6, vcc
	v_add_u32_e32 v6, -7, v3
	v_cmp_ne_u32_e32 vcc, 0, v4
	v_cndmask_b32_e32 v3, v3, v6, vcc
	v_cmp_lt_u32_e32 vcc, 6, v1
	v_cndmask_b32_e64 v4, 0, -1, vcc
	v_cmp_eq_u32_e32 vcc, 0, v2
	v_cndmask_b32_e32 v2, -1, v4, vcc
	v_cmp_ne_u32_e32 vcc, 0, v2
	v_mul_lo_u16_e32 v2, 56, v5
	v_cndmask_b32_e32 v1, v1, v3, vcc
	v_sub_u16_e32 v20, v0, v2
	v_mul_u32_u24_e32 v1, 0x118, v1
	v_lshlrev_b32_e32 v9, 3, v20
	v_lshlrev_b32_e32 v21, 3, v1
	v_add_u32_e32 v0, 0, v9
	v_add_u32_e32 v18, v0, v21
	ds_read2_b64 v[1:4], v18 offset0:35 offset1:70
	ds_read2_b64 v[5:8], v18 offset0:175 offset1:210
	v_add3_u32 v19, 0, v21, v9
	ds_read2_b64 v[9:12], v18 offset0:105 offset1:140
	ds_read_b64 v[22:23], v19
	ds_read_b64 v[24:25], v18 offset:1960
	v_cmp_gt_u16_e32 vcc, 35, v20
	s_waitcnt lgkmcnt(0)
	v_sub_f32_e32 v7, v3, v7
	v_sub_f32_e32 v8, v4, v8
	;; [unrolled: 1-line block ×6, first 2 shown]
	v_fma_f32 v5, v3, 2.0, -v7
	v_fma_f32 v3, v2, 2.0, -v28
	;; [unrolled: 1-line block ×3, first 2 shown]
	v_sub_f32_e32 v29, v9, v24
	v_sub_f32_e32 v25, v10, v25
	;; [unrolled: 1-line block ×3, first 2 shown]
	v_add_f32_e32 v24, v13, v7
	v_fma_f32 v6, v4, 2.0, -v8
	v_fma_f32 v1, v1, 2.0, -v27
	;; [unrolled: 1-line block ×7, first 2 shown]
	v_sub_f32_e32 v26, v27, v25
	v_add_f32_e32 v25, v28, v29
	v_sub_f32_e32 v7, v1, v9
	v_sub_f32_e32 v13, v3, v10
	v_fma_f32 v10, v27, 2.0, -v26
	v_fma_f32 v11, v28, 2.0, -v25
	v_mov_b32_e32 v8, v12
	v_mov_b32_e32 v9, v23
	v_sub_f32_e32 v5, v2, v5
	v_sub_f32_e32 v6, v4, v6
	v_fmac_f32_e32 v8, 0xbf3504f3, v10
	v_fmac_f32_e32 v9, 0xbf3504f3, v11
	v_fmac_f32_e32 v8, 0xbf3504f3, v11
	v_fmac_f32_e32 v9, 0x3f3504f3, v10
	v_sub_f32_e32 v10, v5, v13
	v_add_f32_e32 v11, v6, v7
	s_barrier
	s_and_saveexec_b64 s[4:5], vcc
	s_cbranch_execz .LBB0_16
; %bb.15:
	v_mov_b32_e32 v27, v22
	v_fma_f32 v4, v4, 2.0, -v6
	v_fma_f32 v3, v3, 2.0, -v13
	v_mov_b32_e32 v28, v24
	v_fmac_f32_e32 v27, 0x3f3504f3, v26
	v_sub_f32_e32 v3, v4, v3
	v_fmac_f32_e32 v28, 0x3f3504f3, v25
	v_fmac_f32_e32 v27, 0xbf3504f3, v25
	v_fma_f32 v25, v6, 2.0, -v11
	v_fma_f32 v6, v4, 2.0, -v3
	;; [unrolled: 1-line block ×4, first 2 shown]
	v_fmac_f32_e32 v28, 0x3f3504f3, v26
	v_sub_f32_e32 v2, v4, v1
	v_mul_u32_u24_e32 v1, 56, v20
	v_fma_f32 v30, v24, 2.0, -v28
	v_fma_f32 v29, v22, 2.0, -v27
	;; [unrolled: 1-line block ×6, first 2 shown]
	v_add3_u32 v0, v0, v1, v21
	ds_write2_b64 v0, v[5:6], v[22:23] offset1:1
	ds_write2_b64 v0, v[24:25], v[29:30] offset0:2 offset1:3
	ds_write2_b64 v0, v[2:3], v[8:9] offset0:4 offset1:5
	;; [unrolled: 1-line block ×3, first 2 shown]
.LBB0_16:
	s_or_b64 exec, exec, s[4:5]
	v_and_b32_e32 v22, 7, v20
	v_lshlrev_b32_e32 v0, 5, v22
	s_waitcnt lgkmcnt(0)
	s_barrier
	global_load_dwordx4 v[2:5], v0, s[14:15]
	global_load_dwordx4 v[23:26], v0, s[14:15] offset:16
	ds_read2_b64 v[27:30], v18 offset0:56 offset1:112
	ds_read2_b64 v[31:34], v18 offset0:168 offset1:224
	ds_read2_b32 v[0:1], v19 offset1:1
	v_lshrrev_b32_e32 v35, 3, v20
	v_cmp_gt_u16_e32 vcc, 40, v20
	s_waitcnt vmcnt(0) lgkmcnt(0)
	s_barrier
	v_mul_f32_e32 v6, v3, v28
	v_mul_f32_e32 v3, v3, v27
	;; [unrolled: 1-line block ×6, first 2 shown]
	v_fma_f32 v6, v2, v27, -v6
	v_fmac_f32_e32 v3, v2, v28
	v_mul_f32_e32 v2, v26, v34
	v_mul_f32_e32 v24, v26, v33
	v_fma_f32 v7, v4, v29, -v7
	v_fmac_f32_e32 v5, v4, v30
	v_fma_f32 v4, v23, v31, -v12
	v_fmac_f32_e32 v13, v23, v32
	;; [unrolled: 2-line block ×3, first 2 shown]
	v_add_f32_e32 v23, v6, v0
	v_add_f32_e32 v2, v7, v4
	v_sub_f32_e32 v25, v6, v7
	v_sub_f32_e32 v26, v12, v4
	v_add_f32_e32 v27, v6, v12
	v_sub_f32_e32 v28, v7, v6
	v_add_f32_e32 v30, v5, v13
	v_add_f32_e32 v33, v1, v3
	;; [unrolled: 1-line block ×3, first 2 shown]
	v_sub_f32_e32 v40, v6, v12
	v_add_f32_e32 v6, v23, v7
	v_sub_f32_e32 v31, v3, v5
	v_sub_f32_e32 v36, v5, v3
	v_fma_f32 v2, -0.5, v2, v0
	v_add_f32_e32 v25, v25, v26
	v_sub_f32_e32 v26, v5, v13
	v_sub_f32_e32 v39, v3, v24
	v_fma_f32 v0, -0.5, v27, v0
	v_fma_f32 v3, -0.5, v30, v1
	v_fmac_f32_e32 v1, -0.5, v34
	v_add_f32_e32 v5, v33, v5
	v_add_f32_e32 v23, v6, v4
	v_sub_f32_e32 v29, v4, v12
	v_sub_f32_e32 v32, v24, v13
	;; [unrolled: 1-line block ×4, first 2 shown]
	v_add_f32_e32 v13, v5, v13
	v_mov_b32_e32 v4, v2
	v_mov_b32_e32 v6, v0
	;; [unrolled: 1-line block ×4, first 2 shown]
	v_add_f32_e32 v12, v23, v12
	v_mul_u32_u24_e32 v23, 40, v35
	v_fmac_f32_e32 v2, 0xbf737871, v39
	v_fmac_f32_e32 v0, 0x3f737871, v26
	;; [unrolled: 1-line block ×8, first 2 shown]
	v_or_b32_e32 v22, v23, v22
	v_add_f32_e32 v27, v28, v29
	v_add_f32_e32 v28, v31, v32
	;; [unrolled: 1-line block ×3, first 2 shown]
	v_fmac_f32_e32 v2, 0xbf167918, v26
	v_fmac_f32_e32 v0, 0xbf167918, v39
	v_fmac_f32_e32 v3, 0x3f167918, v38
	v_fmac_f32_e32 v1, 0x3f167918, v40
	v_fmac_f32_e32 v4, 0x3f167918, v26
	v_fmac_f32_e32 v6, 0x3f167918, v39
	v_fmac_f32_e32 v5, 0xbf167918, v38
	v_fmac_f32_e32 v7, 0xbf167918, v40
	v_lshlrev_b32_e32 v22, 3, v22
	v_add_f32_e32 v13, v13, v24
	v_fmac_f32_e32 v2, 0x3e9e377a, v25
	v_fmac_f32_e32 v0, 0x3e9e377a, v27
	;; [unrolled: 1-line block ×8, first 2 shown]
	v_add3_u32 v21, 0, v22, v21
	ds_write2_b64 v21, v[12:13], v[4:5] offset1:8
	ds_write2_b64 v21, v[6:7], v[0:1] offset0:16 offset1:24
	ds_write_b64 v21, v[2:3] offset:256
	s_waitcnt lgkmcnt(0)
	s_barrier
	s_and_saveexec_b64 s[4:5], vcc
	s_cbranch_execz .LBB0_18
; %bb.17:
	ds_read2_b64 v[8:11], v18 offset0:200 offset1:240
	ds_read_b64 v[12:13], v19
	ds_read2_b64 v[4:7], v18 offset0:40 offset1:80
	ds_read2_b64 v[0:3], v18 offset0:120 offset1:160
.LBB0_18:
	s_or_b64 exec, exec, s[4:5]
	s_waitcnt lgkmcnt(0)
	s_barrier
	s_and_saveexec_b64 s[4:5], vcc
	s_cbranch_execz .LBB0_20
; %bb.19:
	v_subrev_u32_e32 v21, 40, v20
	v_cndmask_b32_e32 v20, v21, v20, vcc
	v_mul_i32_i24_e32 v20, 6, v20
	v_mov_b32_e32 v21, 0
	v_lshlrev_b64 v[20:21], 3, v[20:21]
	v_mov_b32_e32 v22, s15
	v_add_co_u32_e32 v32, vcc, s14, v20
	v_addc_co_u32_e32 v33, vcc, v22, v21, vcc
	global_load_dwordx4 v[20:23], v[32:33], off offset:272
	global_load_dwordx4 v[24:27], v[32:33], off offset:256
	;; [unrolled: 1-line block ×3, first 2 shown]
	s_mov_b32 s14, 0xbf3bfb3b
	s_mov_b32 s7, 0xbeae86e6
	;; [unrolled: 1-line block ×3, first 2 shown]
	s_waitcnt vmcnt(2)
	v_mul_f32_e32 v32, v3, v23
	v_mul_f32_e32 v33, v1, v21
	;; [unrolled: 1-line block ×4, first 2 shown]
	s_waitcnt vmcnt(1)
	v_mul_f32_e32 v34, v5, v25
	s_waitcnt vmcnt(0)
	v_mul_f32_e32 v35, v11, v31
	v_mul_f32_e32 v36, v7, v27
	;; [unrolled: 1-line block ×3, first 2 shown]
	v_fma_f32 v2, v2, v22, -v32
	v_fma_f32 v0, v0, v20, -v33
	v_fmac_f32_e32 v21, v1, v20
	v_fmac_f32_e32 v23, v3, v22
	v_mul_f32_e32 v1, v10, v31
	v_mul_f32_e32 v3, v4, v25
	v_mul_f32_e32 v20, v8, v29
	v_mul_f32_e32 v22, v6, v27
	v_fma_f32 v4, v4, v24, -v34
	v_fma_f32 v10, v10, v30, -v35
	;; [unrolled: 1-line block ×4, first 2 shown]
	v_fmac_f32_e32 v1, v11, v30
	v_fmac_f32_e32 v3, v5, v24
	;; [unrolled: 1-line block ×4, first 2 shown]
	v_sub_f32_e32 v5, v4, v10
	v_sub_f32_e32 v7, v2, v0
	;; [unrolled: 1-line block ×3, first 2 shown]
	v_add_f32_e32 v11, v3, v1
	v_add_f32_e32 v25, v22, v20
	;; [unrolled: 1-line block ×6, first 2 shown]
	v_sub_f32_e32 v8, v3, v1
	v_sub_f32_e32 v1, v23, v21
	;; [unrolled: 1-line block ×4, first 2 shown]
	v_add_f32_e32 v22, v25, v11
	v_sub_f32_e32 v23, v4, v0
	v_add_f32_e32 v27, v6, v4
	v_sub_f32_e32 v20, v11, v24
	v_sub_f32_e32 v21, v24, v25
	;; [unrolled: 1-line block ×4, first 2 shown]
	v_add_f32_e32 v1, v1, v10
	v_mul_f32_e32 v30, 0xbf08b237, v3
	v_add_f32_e32 v3, v24, v22
	v_mul_f32_e32 v22, 0x3f4a47b2, v23
	v_add_f32_e32 v24, v0, v27
	v_sub_f32_e32 v26, v0, v6
	v_mul_f32_e32 v27, 0xbf08b237, v29
	v_add_f32_e32 v29, v1, v8
	v_add_f32_e32 v1, v13, v3
	v_mov_b32_e32 v13, v22
	v_add_f32_e32 v0, v12, v24
	v_sub_f32_e32 v2, v5, v7
	v_add_f32_e32 v7, v7, v9
	v_mul_f32_e32 v23, 0x3d64c772, v26
	v_fmac_f32_e32 v13, 0x3d64c772, v26
	v_mov_b32_e32 v26, v0
	v_sub_f32_e32 v6, v6, v4
	v_sub_f32_e32 v9, v9, v5
	v_add_f32_e32 v7, v7, v5
	v_mul_f32_e32 v5, 0x3f4a47b2, v20
	v_fmac_f32_e32 v26, 0xbf955555, v24
	v_fma_f32 v4, v6, s14, -v22
	v_sub_f32_e32 v8, v10, v8
	v_mul_f32_e32 v31, 0x3f5ff5aa, v9
	v_mov_b32_e32 v33, v5
	v_add_f32_e32 v22, v4, v26
	v_mul_f32_e32 v4, 0x3f5ff5aa, v8
	v_mul_f32_e32 v20, 0x3d64c772, v21
	v_mov_b32_e32 v32, v30
	v_mov_b32_e32 v12, v27
	v_fma_f32 v31, v2, s7, -v31
	v_fmac_f32_e32 v33, 0x3d64c772, v21
	v_mov_b32_e32 v21, v1
	v_sub_f32_e32 v11, v25, v11
	v_fma_f32 v10, v28, s7, -v4
	s_mov_b32 s7, 0x3f3bfb3b
	v_fmac_f32_e32 v32, 0x3eae86e6, v2
	v_fmac_f32_e32 v12, 0x3eae86e6, v28
	;; [unrolled: 1-line block ×3, first 2 shown]
	v_fma_f32 v5, v11, s14, -v5
	v_fma_f32 v11, v11, s7, -v20
	;; [unrolled: 1-line block ×5, first 2 shown]
	v_fmac_f32_e32 v32, 0x3ee1c552, v7
	v_fmac_f32_e32 v12, 0x3ee1c552, v29
	v_add_f32_e32 v24, v33, v21
	v_add_f32_e32 v33, v13, v26
	v_fmac_f32_e32 v31, 0x3ee1c552, v7
	v_add_f32_e32 v13, v5, v21
	v_fmac_f32_e32 v10, 0x3ee1c552, v29
	;; [unrolled: 2-line block ×3, first 2 shown]
	v_fmac_f32_e32 v8, 0x3ee1c552, v29
	v_add_f32_e32 v20, v6, v26
	v_add_f32_e32 v3, v32, v24
	v_sub_f32_e32 v2, v33, v12
	v_add_f32_e32 v5, v31, v13
	v_sub_f32_e32 v4, v22, v10
	v_sub_f32_e32 v7, v11, v9
	v_add_f32_e32 v6, v8, v20
	v_add_f32_e32 v9, v9, v11
	v_sub_f32_e32 v8, v20, v8
	v_sub_f32_e32 v11, v13, v31
	v_add_f32_e32 v10, v10, v22
	v_sub_f32_e32 v13, v24, v32
	v_add_f32_e32 v12, v12, v33
	ds_write_b64 v19, v[0:1]
	ds_write2_b64 v18, v[12:13], v[10:11] offset0:40 offset1:80
	ds_write2_b64 v18, v[8:9], v[6:7] offset0:120 offset1:160
	;; [unrolled: 1-line block ×3, first 2 shown]
.LBB0_20:
	s_or_b64 exec, exec, s[4:5]
	s_waitcnt lgkmcnt(0)
	s_barrier
	s_and_saveexec_b64 s[4:5], s[0:1]
	s_cbranch_execz .LBB0_22
; %bb.21:
	v_mad_u64_u32 v[4:5], s[0:1], s10, v16, 0
	v_mad_u64_u32 v[6:7], s[0:1], s8, v14, 0
	v_mov_b32_e32 v0, v5
	v_mad_u64_u32 v[0:1], s[0:1], s11, v16, v[0:1]
	v_mov_b32_e32 v1, v7
	;; [unrolled: 2-line block ×3, first 2 shown]
	s_lshl_b64 s[0:1], s[2:3], 3
	v_mul_u32_u24_e32 v0, 0x8c0, v16
	s_add_u32 s0, s12, s0
	v_lshlrev_b64 v[4:5], 3, v[4:5]
	v_add3_u32 v8, 0, v0, v17
	s_addc_u32 s1, s13, s1
	v_mov_b32_e32 v7, v1
	ds_read2_b64 v[0:3], v8 offset1:56
	v_mov_b32_e32 v9, s1
	v_add_co_u32_e32 v10, vcc, s0, v4
	v_addc_co_u32_e32 v9, vcc, v9, v5, vcc
	v_lshlrev_b64 v[4:5], 3, v[6:7]
	v_mad_u64_u32 v[6:7], s[0:1], s8, v15, 0
	v_add_co_u32_e32 v4, vcc, v10, v4
	v_addc_co_u32_e32 v5, vcc, v9, v5, vcc
	s_waitcnt lgkmcnt(0)
	global_store_dwordx2 v[4:5], v[0:1], off
	v_mov_b32_e32 v0, v7
	v_mad_u64_u32 v[0:1], s[0:1], s9, v15, v[0:1]
	v_add_u32_e32 v11, 0x70, v14
	v_mad_u64_u32 v[4:5], s[0:1], s8, v11, 0
	v_mov_b32_e32 v7, v0
	v_lshlrev_b64 v[0:1], 3, v[6:7]
	v_mad_u64_u32 v[5:6], s[0:1], s9, v11, v[5:6]
	v_add_co_u32_e32 v0, vcc, v10, v0
	v_addc_co_u32_e32 v1, vcc, v9, v1, vcc
	global_store_dwordx2 v[0:1], v[2:3], off
	ds_read2_b64 v[0:3], v8 offset0:112 offset1:168
	v_add_u32_e32 v11, 0xa8, v14
	v_lshlrev_b64 v[4:5], 3, v[4:5]
	v_mad_u64_u32 v[6:7], s[0:1], s8, v11, 0
	v_add_co_u32_e32 v4, vcc, v10, v4
	v_addc_co_u32_e32 v5, vcc, v9, v5, vcc
	s_waitcnt lgkmcnt(0)
	global_store_dwordx2 v[4:5], v[0:1], off
	v_mov_b32_e32 v0, v7
	v_mad_u64_u32 v[0:1], s[0:1], s9, v11, v[0:1]
	v_add_u32_e32 v11, 0xe0, v14
	v_mad_u64_u32 v[4:5], s[0:1], s8, v11, 0
	v_mov_b32_e32 v7, v0
	v_lshlrev_b64 v[0:1], 3, v[6:7]
	v_mad_u64_u32 v[5:6], s[0:1], s9, v11, v[5:6]
	v_add_co_u32_e32 v0, vcc, v10, v0
	v_addc_co_u32_e32 v1, vcc, v9, v1, vcc
	global_store_dwordx2 v[0:1], v[2:3], off
	ds_read_b64 v[0:1], v8 offset:1792
	v_lshlrev_b64 v[2:3], 3, v[4:5]
	v_add_co_u32_e32 v2, vcc, v10, v2
	v_addc_co_u32_e32 v3, vcc, v9, v3, vcc
	s_waitcnt lgkmcnt(0)
	global_store_dwordx2 v[2:3], v[0:1], off
.LBB0_22:
	s_endpgm
	.section	.rodata,"a",@progbits
	.p2align	6, 0x0
	.amdhsa_kernel fft_rtc_fwd_len280_factors_8_5_7_wgs_392_tpt_56_sp_ip_CI_sbcc
		.amdhsa_group_segment_fixed_size 0
		.amdhsa_private_segment_fixed_size 0
		.amdhsa_kernarg_size 96
		.amdhsa_user_sgpr_count 6
		.amdhsa_user_sgpr_private_segment_buffer 1
		.amdhsa_user_sgpr_dispatch_ptr 0
		.amdhsa_user_sgpr_queue_ptr 0
		.amdhsa_user_sgpr_kernarg_segment_ptr 1
		.amdhsa_user_sgpr_dispatch_id 0
		.amdhsa_user_sgpr_flat_scratch_init 0
		.amdhsa_user_sgpr_private_segment_size 0
		.amdhsa_uses_dynamic_stack 0
		.amdhsa_system_sgpr_private_segment_wavefront_offset 0
		.amdhsa_system_sgpr_workgroup_id_x 1
		.amdhsa_system_sgpr_workgroup_id_y 0
		.amdhsa_system_sgpr_workgroup_id_z 0
		.amdhsa_system_sgpr_workgroup_info 0
		.amdhsa_system_vgpr_workitem_id 0
		.amdhsa_next_free_vgpr 41
		.amdhsa_next_free_sgpr 43
		.amdhsa_reserve_vcc 1
		.amdhsa_reserve_flat_scratch 0
		.amdhsa_float_round_mode_32 0
		.amdhsa_float_round_mode_16_64 0
		.amdhsa_float_denorm_mode_32 3
		.amdhsa_float_denorm_mode_16_64 3
		.amdhsa_dx10_clamp 1
		.amdhsa_ieee_mode 1
		.amdhsa_fp16_overflow 0
		.amdhsa_exception_fp_ieee_invalid_op 0
		.amdhsa_exception_fp_denorm_src 0
		.amdhsa_exception_fp_ieee_div_zero 0
		.amdhsa_exception_fp_ieee_overflow 0
		.amdhsa_exception_fp_ieee_underflow 0
		.amdhsa_exception_fp_ieee_inexact 0
		.amdhsa_exception_int_div_zero 0
	.end_amdhsa_kernel
	.text
.Lfunc_end0:
	.size	fft_rtc_fwd_len280_factors_8_5_7_wgs_392_tpt_56_sp_ip_CI_sbcc, .Lfunc_end0-fft_rtc_fwd_len280_factors_8_5_7_wgs_392_tpt_56_sp_ip_CI_sbcc
                                        ; -- End function
	.section	.AMDGPU.csdata,"",@progbits
; Kernel info:
; codeLenInByte = 4460
; NumSgprs: 47
; NumVgprs: 41
; ScratchSize: 0
; MemoryBound: 0
; FloatMode: 240
; IeeeMode: 1
; LDSByteSize: 0 bytes/workgroup (compile time only)
; SGPRBlocks: 5
; VGPRBlocks: 10
; NumSGPRsForWavesPerEU: 47
; NumVGPRsForWavesPerEU: 41
; Occupancy: 5
; WaveLimiterHint : 1
; COMPUTE_PGM_RSRC2:SCRATCH_EN: 0
; COMPUTE_PGM_RSRC2:USER_SGPR: 6
; COMPUTE_PGM_RSRC2:TRAP_HANDLER: 0
; COMPUTE_PGM_RSRC2:TGID_X_EN: 1
; COMPUTE_PGM_RSRC2:TGID_Y_EN: 0
; COMPUTE_PGM_RSRC2:TGID_Z_EN: 0
; COMPUTE_PGM_RSRC2:TIDIG_COMP_CNT: 0
	.type	__hip_cuid_3d1b319acb0d255d,@object ; @__hip_cuid_3d1b319acb0d255d
	.section	.bss,"aw",@nobits
	.globl	__hip_cuid_3d1b319acb0d255d
__hip_cuid_3d1b319acb0d255d:
	.byte	0                               ; 0x0
	.size	__hip_cuid_3d1b319acb0d255d, 1

	.ident	"AMD clang version 19.0.0git (https://github.com/RadeonOpenCompute/llvm-project roc-6.4.0 25133 c7fe45cf4b819c5991fe208aaa96edf142730f1d)"
	.section	".note.GNU-stack","",@progbits
	.addrsig
	.addrsig_sym __hip_cuid_3d1b319acb0d255d
	.amdgpu_metadata
---
amdhsa.kernels:
  - .args:
      - .actual_access:  read_only
        .address_space:  global
        .offset:         0
        .size:           8
        .value_kind:     global_buffer
      - .address_space:  global
        .offset:         8
        .size:           8
        .value_kind:     global_buffer
      - .offset:         16
        .size:           8
        .value_kind:     by_value
      - .actual_access:  read_only
        .address_space:  global
        .offset:         24
        .size:           8
        .value_kind:     global_buffer
      - .actual_access:  read_only
        .address_space:  global
        .offset:         32
        .size:           8
        .value_kind:     global_buffer
      - .offset:         40
        .size:           8
        .value_kind:     by_value
      - .actual_access:  read_only
        .address_space:  global
        .offset:         48
        .size:           8
        .value_kind:     global_buffer
      - .actual_access:  read_only
        .address_space:  global
        .offset:         56
        .size:           8
        .value_kind:     global_buffer
      - .offset:         64
        .size:           4
        .value_kind:     by_value
      - .actual_access:  read_only
        .address_space:  global
        .offset:         72
        .size:           8
        .value_kind:     global_buffer
      - .actual_access:  read_only
        .address_space:  global
        .offset:         80
        .size:           8
        .value_kind:     global_buffer
      - .address_space:  global
        .offset:         88
        .size:           8
        .value_kind:     global_buffer
    .group_segment_fixed_size: 0
    .kernarg_segment_align: 8
    .kernarg_segment_size: 96
    .language:       OpenCL C
    .language_version:
      - 2
      - 0
    .max_flat_workgroup_size: 392
    .name:           fft_rtc_fwd_len280_factors_8_5_7_wgs_392_tpt_56_sp_ip_CI_sbcc
    .private_segment_fixed_size: 0
    .sgpr_count:     47
    .sgpr_spill_count: 0
    .symbol:         fft_rtc_fwd_len280_factors_8_5_7_wgs_392_tpt_56_sp_ip_CI_sbcc.kd
    .uniform_work_group_size: 1
    .uses_dynamic_stack: false
    .vgpr_count:     41
    .vgpr_spill_count: 0
    .wavefront_size: 64
amdhsa.target:   amdgcn-amd-amdhsa--gfx906
amdhsa.version:
  - 1
  - 2
...

	.end_amdgpu_metadata
